;; amdgpu-corpus repo=triton-lang/triton kind=triton arch=gfx950 opt=O3 lang=triton
	.amdgcn_target "amdgcn-amd-amdhsa--gfx950"
	.amdhsa_code_object_version 5
	.text
	.globl	indirect_matmul_kernel          ; -- Begin function indirect_matmul_kernel
	.p2align	8
	.type	indirect_matmul_kernel,@function
indirect_matmul_kernel:                 ; @indirect_matmul_kernel
.Lfunc_begin0:
	.cfi_sections .debug_frame
	.cfi_startproc
; %bb.5:
	.file	1 "/root/src/amdgpu-assembly/repos/triton-lang__triton-aot" "indirect_matmul.py"
	.loc	1 8 0 prologue_end              ; indirect_matmul.py:8:0
	s_load_dwordx2 s[2:3], s[0:1], 0x0
	s_load_dwordx8 s[4:11], s[0:1], 0x8
	s_load_dwordx4 s[12:15], s[0:1], 0x28
	s_waitcnt lgkmcnt(0)
	s_branch .LBB0_0
	.loc	1 0 0 is_stmt 0                 ; :0:0
.Ltmp0:
	.p2align	8
; %bb.6:
.LBB0_0:
	s_load_dword s13, s[0:1], 0x38
.Ltmp1:
	.loc	1 42 28 is_stmt 1               ; indirect_matmul.py:42:28
	v_readfirstlane_b32 s0, v0
	.loc	1 23 40                         ; indirect_matmul.py:23:40
	s_and_b32 s5, s0, 0x180
	.loc	1 26 35                         ; indirect_matmul.py:26:35
	s_and_b32 s9, s0, 64
	v_mov_b32_e32 v19, 0
	.loc	1 32 25                         ; indirect_matmul.py:32:25
	s_waitcnt lgkmcnt(0)
	s_cmp_lt_i32 s13, 1
	s_cbranch_scc1 .LBB0_3
; %bb.1:                                ; %.lr.ph
	.loc	1 43 23                         ; indirect_matmul.py:43:23
	s_and_b32 s0, s0, 0x1c0
	.loc	1 23 40                         ; indirect_matmul.py:23:40
	v_and_b32_e32 v1, 63, v0
	v_or_b32_e32 v2, s0, v1
	v_mov_b32_e32 v3, 0x7f
	v_bitop3_b32 v3, s0, v3, v1 bitop3:0xc8
	.loc	1 28 17                         ; indirect_matmul.py:28:17
	v_lshlrev_b32_e32 v18, 1, v1
	v_lshlrev_b32_e32 v1, 7, v2
	;; [unrolled: 1-line block ×5, first 2 shown]
	v_and_b32_e32 v1, 0x3800, v1
	s_lshl1_add_u32 s1, s5, 0
	v_and_b32_e32 v6, 0x580, v6
	v_and_b32_e32 v7, 24, v7
	;; [unrolled: 1-line block ×3, first 2 shown]
	v_add_u32_e32 v1, s1, v1
	v_lshlrev_b32_e32 v4, 5, v2
	v_lshlrev_b32_e32 v5, 7, v0
	;; [unrolled: 1-line block ×3, first 2 shown]
	s_lshr_b32 s1, s5, 3
	v_bitop3_b32 v6, v6, v8, v7 bitop3:0x36
	v_lshl_add_u64 v[20:21], s[6:7], 0, v[18:19]
	.loc	1 29 17                         ; indirect_matmul.py:29:17
	v_lshlrev_b32_e32 v18, 1, v3
	v_lshlrev_b32_e32 v3, 4, v0
	v_and_b32_e32 v4, 0x3400, v4
	v_and_b32_e32 v5, 0x800, v5
	v_xor_b32_e32 v2, s1, v2
	v_xor_b32_e32 v6, s9, v6
	v_and_b32_e32 v3, 0xf0, v3
	v_add3_u32 v4, 0, v4, v5
	v_xor_b32_e32 v5, 64, v2
	v_xor_b32_e32 v7, 32, v6
	.loc	1 32 25                         ; indirect_matmul.py:32:25
	s_lshr_b32 s1, s5, 5
	.loc	1 29 17                         ; indirect_matmul.py:29:17
	v_lshl_add_u64 v[22:23], s[10:11], 0, v[18:19]
	s_mov_b32 s10, 0
	.loc	1 32 25                         ; indirect_matmul.py:32:25
	s_and_b32 s11, s1, 12
	s_lshr_b32 s16, s0, 4
	s_mov_b32 s17, 0x5040100
	v_add_u32_e32 v1, v1, v3
	v_add_u32_e32 v18, v4, v3
	;; [unrolled: 1-line block ×6, first 2 shown]
	s_mov_b32 s18, 0x7060302
	v_mov_b32_e32 v2, 0
	v_mov_b32_e32 v3, v19
	;; [unrolled: 1-line block ×16, first 2 shown]
.LBB0_2:                                ; =>This Inner Loop Header: Depth=1
	.loc	1 33 22                         ; indirect_matmul.py:33:22
	s_add_u32 s6, s14, s11
	s_addc_u32 s7, s15, 0
	s_add_u32 s0, s14, s16
	s_addc_u32 s1, s15, 0
	global_load_dword v58, v19, s[0:1]
	global_load_dword v60, v19, s[0:1] offset:64
	global_load_dword v61, v19, s[0:1] offset:128
	;; [unrolled: 1-line block ×14, first 2 shown]
	global_load_dword v42, v19, s[6:7]
	global_load_dword v41, v19, s[6:7] offset:16
	global_load_dword v40, v19, s[6:7] offset:32
	;; [unrolled: 1-line block ×31, first 2 shown]
	.loc	1 32 25                         ; indirect_matmul.py:32:25
	s_addk_i32 s10, 0x80
	s_add_u32 s14, s14, 0x200
	s_addc_u32 s15, s15, 0
	s_cmp_lt_i32 s10, s13
	.loc	1 36 44                         ; indirect_matmul.py:36:44
	s_waitcnt vmcnt(31)
	v_mul_lo_u32 v42, v42, s12
	s_waitcnt vmcnt(29)
	v_mul_lo_u32 v40, v40, s12
	;; [unrolled: 2-line block ×6, first 2 shown]
	.loc	1 35 44                         ; indirect_matmul.py:35:44
	v_mul_lo_u32 v58, v58, s8
	.loc	1 35 29 is_stmt 0               ; indirect_matmul.py:35:29
	v_ashrrev_i32_e32 v59, 31, v58
	v_lshl_add_u64 v[58:59], v[58:59], 1, v[20:21]
	.loc	1 35 20                         ; indirect_matmul.py:35:20
	global_load_ushort v80, v[58:59], off
	.loc	1 33 22 is_stmt 1               ; indirect_matmul.py:33:22
	global_load_dword v77, v19, s[0:1] offset:480
	.loc	1 35 44                         ; indirect_matmul.py:35:44
	v_mul_lo_u32 v58, v60, s8
	v_mul_lo_u32 v60, v61, s8
	;; [unrolled: 1-line block ×3, first 2 shown]
	.loc	1 35 29 is_stmt 0               ; indirect_matmul.py:35:29
	v_ashrrev_i32_e32 v59, 31, v58
	v_ashrrev_i32_e32 v61, 31, v60
	;; [unrolled: 1-line block ×3, first 2 shown]
	v_lshl_add_u64 v[58:59], v[58:59], 1, v[20:21]
	v_lshl_add_u64 v[60:61], v[60:61], 1, v[20:21]
	;; [unrolled: 1-line block ×3, first 2 shown]
	.loc	1 35 20                         ; indirect_matmul.py:35:20
	global_load_ushort v81, v[58:59], off
	global_load_ushort v82, v[60:61], off
	;; [unrolled: 1-line block ×3, first 2 shown]
	.loc	1 35 44                         ; indirect_matmul.py:35:44
	v_mul_lo_u32 v62, v64, s8
	v_mul_lo_u32 v64, v65, s8
	.loc	1 35 29                         ; indirect_matmul.py:35:29
	v_ashrrev_i32_e32 v63, 31, v62
	v_ashrrev_i32_e32 v65, 31, v64
	v_lshl_add_u64 v[62:63], v[62:63], 1, v[20:21]
	v_lshl_add_u64 v[64:65], v[64:65], 1, v[20:21]
	.loc	1 35 20                         ; indirect_matmul.py:35:20
	global_load_ushort v84, v[62:63], off
	global_load_ushort v85, v[64:65], off
	.loc	1 35 44                         ; indirect_matmul.py:35:44
	v_mul_lo_u32 v64, v66, s8
	v_mul_lo_u32 v66, v67, s8
	.loc	1 35 29                         ; indirect_matmul.py:35:29
	v_ashrrev_i32_e32 v65, 31, v64
	v_ashrrev_i32_e32 v67, 31, v66
	.loc	1 36 44 is_stmt 1               ; indirect_matmul.py:36:44
	v_mul_lo_u32 v58, v50, s12
	.loc	1 35 29                         ; indirect_matmul.py:35:29
	v_lshl_add_u64 v[64:65], v[64:65], 1, v[20:21]
	v_lshl_add_u64 v[66:67], v[66:67], 1, v[20:21]
	.loc	1 36 44                         ; indirect_matmul.py:36:44
	v_mul_lo_u32 v60, v49, s12
	v_mul_lo_u32 v62, v47, s12
	.loc	1 35 20                         ; indirect_matmul.py:35:20
	global_load_ushort v86, v[64:65], off
	global_load_ushort v87, v[66:67], off
	.loc	1 36 44                         ; indirect_matmul.py:36:44
	v_mul_lo_u32 v64, v45, s12
	v_mul_lo_u32 v66, v43, s12
	.loc	1 36 29 is_stmt 0               ; indirect_matmul.py:36:29
	v_ashrrev_i32_e32 v59, 31, v58
	v_ashrrev_i32_e32 v49, 31, v48
	;; [unrolled: 1-line block ×4, first 2 shown]
	v_lshl_add_u64 v[58:59], v[58:59], 1, v[22:23]
	v_ashrrev_i32_e32 v61, 31, v60
	v_lshl_add_u64 v[48:49], v[48:49], 1, v[22:23]
	v_ashrrev_i32_e32 v63, 31, v62
	;; [unrolled: 2-line block ×3, first 2 shown]
	v_ashrrev_i32_e32 v65, 31, v64
	v_lshl_add_u64 v[42:43], v[42:43], 1, v[22:23]
	.loc	1 36 20                         ; indirect_matmul.py:36:20
	global_load_ushort v50, v[58:59], off
	.loc	1 36 29                         ; indirect_matmul.py:36:29
	v_lshl_add_u64 v[58:59], v[60:61], 1, v[22:23]
	.loc	1 36 20                         ; indirect_matmul.py:36:20
	global_load_ushort v79, v[48:49], off
	.loc	1 36 29                         ; indirect_matmul.py:36:29
	;; [unrolled: 4-line block ×4, first 2 shown]
	v_lshl_add_u64 v[46:47], v[66:67], 1, v[22:23]
	.loc	1 36 20                         ; indirect_matmul.py:36:20
	global_load_ushort v78, v[58:59], off
	global_load_ushort v66, v[46:47], off
	.loc	1 36 44                         ; indirect_matmul.py:36:44
	v_mul_lo_u32 v58, v41, s12
	.loc	1 36 29                         ; indirect_matmul.py:36:29
	v_ashrrev_i32_e32 v45, 31, v44
	v_ashrrev_i32_e32 v41, 31, v40
	v_lshl_add_u64 v[44:45], v[44:45], 1, v[22:23]
	v_ashrrev_i32_e32 v59, 31, v58
	v_lshl_add_u64 v[40:41], v[40:41], 1, v[22:23]
	.loc	1 36 20                         ; indirect_matmul.py:36:20
	global_load_ushort v62, v[48:49], off
	global_load_ushort v67, v[44:45], off
	.loc	1 36 44                         ; indirect_matmul.py:36:44
	v_mul_lo_u32 v48, v39, s12
	.loc	1 36 29                         ; indirect_matmul.py:36:29
	v_lshl_add_u64 v[42:43], v[58:59], 1, v[22:23]
	.loc	1 36 20                         ; indirect_matmul.py:36:20
	global_load_ushort v59, v[40:41], off
	.loc	1 36 44                         ; indirect_matmul.py:36:44
	v_mul_lo_u32 v44, v35, s12
	.loc	1 36 29                         ; indirect_matmul.py:36:29
	v_ashrrev_i32_e32 v39, 31, v38
	.loc	1 36 20                         ; indirect_matmul.py:36:20
	global_load_ushort v58, v[42:43], off
	.loc	1 36 44                         ; indirect_matmul.py:36:44
	v_mul_lo_u32 v46, v37, s12
	.loc	1 36 29                         ; indirect_matmul.py:36:29
	v_ashrrev_i32_e32 v49, 31, v48
	v_lshl_add_u64 v[38:39], v[38:39], 1, v[22:23]
	v_ashrrev_i32_e32 v45, 31, v44
	v_lshl_add_u64 v[40:41], v[48:49], 1, v[22:23]
	.loc	1 36 20                         ; indirect_matmul.py:36:20
	global_load_ushort v49, v[38:39], off
	.loc	1 36 29                         ; indirect_matmul.py:36:29
	v_ashrrev_i32_e32 v47, 31, v46
	v_lshl_add_u64 v[42:43], v[44:45], 1, v[22:23]
	.loc	1 36 20                         ; indirect_matmul.py:36:20
	global_load_ushort v64, v[60:61], off
	global_load_ushort v48, v[40:41], off
	.loc	1 36 29                         ; indirect_matmul.py:36:29
	v_lshl_add_u64 v[38:39], v[46:47], 1, v[22:23]
	.loc	1 36 20                         ; indirect_matmul.py:36:20
	global_load_ushort v47, v[42:43], off
	.loc	1 36 44                         ; indirect_matmul.py:36:44
	v_mul_lo_u32 v60, v33, s12
	.loc	1 36 29                         ; indirect_matmul.py:36:29
	v_ashrrev_i32_e32 v61, 31, v60
	v_lshl_add_u64 v[44:45], v[60:61], 1, v[22:23]
	.loc	1 36 44                         ; indirect_matmul.py:36:44
	s_waitcnt vmcnt(38)
	v_mul_lo_u32 v36, v36, s12
	s_waitcnt vmcnt(37)
	v_mul_lo_u32 v34, v34, s12
	;; [unrolled: 2-line block ×3, first 2 shown]
	.loc	1 36 20                         ; indirect_matmul.py:36:20
	global_load_ushort v57, v[44:45], off
	.loc	1 36 44                         ; indirect_matmul.py:36:44
	s_waitcnt vmcnt(31)
	v_mul_lo_u32 v44, v51, s12
	.loc	1 36 29                         ; indirect_matmul.py:36:29
	v_ashrrev_i32_e32 v37, 31, v36
	v_ashrrev_i32_e32 v35, 31, v34
	v_ashrrev_i32_e32 v43, 31, v42
	v_ashrrev_i32_e32 v45, 31, v44
	v_lshl_add_u64 v[36:37], v[36:37], 1, v[22:23]
	v_lshl_add_u64 v[34:35], v[34:35], 1, v[22:23]
	;; [unrolled: 1-line block ×4, first 2 shown]
	.loc	1 36 44                         ; indirect_matmul.py:36:44
	v_mul_lo_u32 v32, v32, s12
	.loc	1 36 20                         ; indirect_matmul.py:36:20
	global_load_ushort v51, v[36:37], off
	global_load_ushort v60, v[42:43], off
	.loc	1 36 29                         ; indirect_matmul.py:36:29
	v_ashrrev_i32_e32 v33, 31, v32
	.loc	1 36 20                         ; indirect_matmul.py:36:20
	global_load_ushort v44, v[44:45], off
	.loc	1 36 44                         ; indirect_matmul.py:36:44
	s_waitcnt vmcnt(33)
	v_mul_lo_u32 v36, v52, s12
	.loc	1 36 20                         ; indirect_matmul.py:36:20
	global_load_ushort v52, v[34:35], off
	.loc	1 36 44                         ; indirect_matmul.py:36:44
	v_mul_lo_u32 v40, v31, s12
	.loc	1 36 29                         ; indirect_matmul.py:36:29
	v_ashrrev_i32_e32 v41, 31, v40
	v_ashrrev_i32_e32 v37, 31, v36
	v_lshl_add_u64 v[32:33], v[32:33], 1, v[22:23]
	v_lshl_add_u64 v[40:41], v[40:41], 1, v[22:23]
	;; [unrolled: 1-line block ×3, first 2 shown]
	.loc	1 36 44                         ; indirect_matmul.py:36:44
	v_mul_lo_u32 v30, v30, s12
	.loc	1 36 20                         ; indirect_matmul.py:36:20
	global_load_ushort v46, v[38:39], off
	.loc	1 36 44                         ; indirect_matmul.py:36:44
	s_waitcnt vmcnt(34)
	v_mul_lo_u32 v34, v53, s12
	.loc	1 36 20                         ; indirect_matmul.py:36:20
	global_load_ushort v53, v[32:33], off
	global_load_ushort v45, v[36:37], off
	.loc	1 36 44                         ; indirect_matmul.py:36:44
	s_waitcnt vmcnt(35)
	v_mul_lo_u32 v32, v54, s12
	.loc	1 36 20                         ; indirect_matmul.py:36:20
	global_load_ushort v54, v[40:41], off
	.loc	1 36 44                         ; indirect_matmul.py:36:44
	s_waitcnt vmcnt(35)
	v_mul_lo_u32 v40, v55, s12
	.loc	1 36 29                         ; indirect_matmul.py:36:29
	v_ashrrev_i32_e32 v31, 31, v30
	v_ashrrev_i32_e32 v35, 31, v34
	;; [unrolled: 1-line block ×3, first 2 shown]
	v_lshl_add_u64 v[30:31], v[30:31], 1, v[22:23]
	v_lshl_add_u64 v[34:35], v[34:35], 1, v[22:23]
	;; [unrolled: 1-line block ×3, first 2 shown]
	.loc	1 36 20                         ; indirect_matmul.py:36:20
	global_load_ushort v55, v[30:31], off
	global_load_ushort v61, v[34:35], off
	.loc	1 36 44                         ; indirect_matmul.py:36:44
	s_waitcnt vmcnt(34)
	v_mul_lo_u32 v42, v69, s12
	.loc	1 36 20                         ; indirect_matmul.py:36:20
	global_load_ushort v69, v[40:41], off
	.loc	1 36 44                         ; indirect_matmul.py:36:44
	v_mul_lo_u32 v30, v56, s12
	.loc	1 36 29                         ; indirect_matmul.py:36:29
	v_ashrrev_i32_e32 v31, 31, v30
	v_lshl_add_u64 v[30:31], v[30:31], 1, v[22:23]
	.loc	1 35 44 is_stmt 1               ; indirect_matmul.py:35:44
	v_mul_lo_u32 v36, v73, s8
	.loc	1 36 20                         ; indirect_matmul.py:36:20
	global_load_ushort v73, v[30:31], off
	.loc	1 36 44 is_stmt 0               ; indirect_matmul.py:36:44
	v_mul_lo_u32 v38, v29, s12
	.loc	1 36 29                         ; indirect_matmul.py:36:29
	v_ashrrev_i32_e32 v39, 31, v38
	v_lshl_add_u64 v[38:39], v[38:39], 1, v[22:23]
	.loc	1 36 20                         ; indirect_matmul.py:36:20
	global_load_ushort v56, v[38:39], off
	.loc	1 36 44                         ; indirect_matmul.py:36:44
	v_mul_lo_u32 v38, v68, s12
	v_mul_lo_u32 v28, v28, s12
	.loc	1 36 29                         ; indirect_matmul.py:36:29
	v_ashrrev_i32_e32 v33, 31, v32
	v_ashrrev_i32_e32 v39, 31, v38
	;; [unrolled: 1-line block ×4, first 2 shown]
	v_lshl_add_u64 v[32:33], v[32:33], 1, v[22:23]
	v_lshl_add_u64 v[38:39], v[38:39], 1, v[22:23]
	;; [unrolled: 1-line block ×4, first 2 shown]
	.loc	1 35 44 is_stmt 1               ; indirect_matmul.py:35:44
	v_mul_lo_u32 v34, v74, s8
	.loc	1 36 20                         ; indirect_matmul.py:36:20
	global_load_ushort v68, v[32:33], off
	.loc	1 35 44                         ; indirect_matmul.py:35:44
	v_mul_lo_u32 v40, v76, s8
	v_mul_lo_u32 v30, v70, s8
	.loc	1 36 20                         ; indirect_matmul.py:36:20
	global_load_ushort v70, v[38:39], off
	.loc	1 35 44                         ; indirect_matmul.py:35:44
	v_mul_lo_u32 v38, v71, s8
	.loc	1 36 20                         ; indirect_matmul.py:36:20
	global_load_ushort v71, v[42:43], off
	.loc	1 35 44                         ; indirect_matmul.py:35:44
	;; [unrolled: 4-line block ×3, first 2 shown]
	v_mul_lo_u32 v32, v75, s8
	s_waitcnt vmcnt(39)
	v_mul_lo_u32 v28, v77, s8
	.loc	1 35 29 is_stmt 0               ; indirect_matmul.py:35:29
	v_ashrrev_i32_e32 v37, 31, v36
	v_ashrrev_i32_e32 v35, 31, v34
	;; [unrolled: 1-line block ×8, first 2 shown]
	v_lshl_add_u64 v[36:37], v[36:37], 1, v[20:21]
	v_lshl_add_u64 v[34:35], v[34:35], 1, v[20:21]
	;; [unrolled: 1-line block ×8, first 2 shown]
	.loc	1 35 20                         ; indirect_matmul.py:35:20
	global_load_ushort v74, v[36:37], off
	global_load_ushort v75, v[34:35], off
	;; [unrolled: 1-line block ×8, first 2 shown]
	.loc	1 38 21 is_stmt 1               ; indirect_matmul.py:38:21
	s_waitcnt vmcnt(35)
	v_perm_b32 v31, v79, v78, s17
	s_waitcnt vmcnt(33)
	v_perm_b32 v30, v62, v50, s17
	;; [unrolled: 2-line block ×3, first 2 shown]
	v_perm_b32 v35, v67, v66, s17
	s_waitcnt vmcnt(28)
	v_perm_b32 v34, v64, v63, s17
	s_waitcnt vmcnt(25)
	v_perm_b32 v33, v57, v47, s17
	v_perm_b32 v32, v48, v59, s17
	s_waitcnt lgkmcnt(0)
	s_barrier
	s_waitcnt vmcnt(21)
	v_perm_b32 v36, v52, v51, s17
	s_waitcnt vmcnt(20)
	v_perm_b32 v29, v46, v49, s17
	ds_write_b128 v1, v[28:31]
	ds_write_b128 v1, v[32:35] offset:1024
	s_waitcnt vmcnt(18) lgkmcnt(0)
	v_perm_b32 v38, v45, v44, s17
	s_barrier
	ds_read_b128 v[28:31], v18
	ds_read_b128 v[32:35], v18 offset:256
	ds_read_b128 v[44:47], v18 offset:512
	ds_read_b128 v[48:51], v18 offset:768
	s_waitcnt lgkmcnt(0)
	s_barrier
	.loc	1 38 26 is_stmt 0               ; indirect_matmul.py:38:26
	v_perm_b32 v62, v32, v28, s18
	v_perm_b32 v63, v48, v44, s18
	.loc	1 38 21                         ; indirect_matmul.py:38:21
	s_waitcnt vmcnt(16)
	v_perm_b32 v37, v55, v54, s17
	s_waitcnt vmcnt(13)
	v_perm_b32 v39, v73, v69, s17
	;; [unrolled: 2-line block ×3, first 2 shown]
	.loc	1 38 26                         ; indirect_matmul.py:38:26
	v_perm_b32 v60, v32, v28, s17
	v_perm_b32 v28, v35, v31, s17
	.loc	1 38 21                         ; indirect_matmul.py:38:21
	s_waitcnt vmcnt(11)
	v_perm_b32 v42, v68, v61, s17
	.loc	1 38 26                         ; indirect_matmul.py:38:26
	v_perm_b32 v61, v48, v44, s17
	.loc	1 38 21                         ; indirect_matmul.py:38:21
	s_waitcnt vmcnt(9)
	v_perm_b32 v43, v71, v70, s17
	s_waitcnt vmcnt(8)
	v_perm_b32 v40, v72, v53, s17
	ds_write_b128 v1, v[36:39]
	ds_write_b128 v1, v[40:43] offset:1024
	s_waitcnt lgkmcnt(0)
	s_barrier
	ds_read_b128 v[36:39], v18
	ds_read_b128 v[40:43], v18 offset:256
	ds_read_b128 v[52:55], v18 offset:512
	;; [unrolled: 1-line block ×3, first 2 shown]
	.loc	1 35 20 is_stmt 1               ; indirect_matmul.py:35:20
	s_waitcnt lgkmcnt(0)
	s_barrier
	ds_write_b16 v24, v80
	ds_write_b16 v24, v81 offset:2048
	ds_write_b16 v24, v82 offset:4096
	;; [unrolled: 1-line block ×7, first 2 shown]
	s_waitcnt vmcnt(7)
	ds_write_b16 v25, v74 offset:1024
	s_waitcnt vmcnt(6)
	ds_write_b16 v25, v75 offset:3072
	;; [unrolled: 2-line block ×8, first 2 shown]
	s_waitcnt lgkmcnt(0)
	s_barrier
	ds_read_b64_tr_b16 v[66:67], v27 offset:512
	ds_read_b64_tr_b16 v[64:65], v26
	ds_read_b64_tr_b16 v[68:69], v26 offset:2048
	ds_read_b64_tr_b16 v[72:73], v26 offset:4096
	;; [unrolled: 1-line block ×6, first 2 shown]
	.loc	1 38 26                         ; indirect_matmul.py:38:26
	s_waitcnt lgkmcnt(6)
	v_mfma_f32_32x32x16_bf16 v[2:17], v[64:67], v[60:63], v[2:17]
	v_perm_b32 v60, v33, v29, s17
	v_perm_b32 v62, v33, v29, s18
	;; [unrolled: 1-line block ×5, first 2 shown]
	.loc	1 35 20                         ; indirect_matmul.py:35:20
	ds_read_b64_tr_b16 v[44:45], v26 offset:12288
	ds_read_b64_tr_b16 v[48:49], v26 offset:14336
	ds_read_b64_tr_b16 v[66:67], v27 offset:8704
	ds_read_b64_tr_b16 v[64:65], v26 offset:8192
	ds_read_b64_tr_b16 v[32:33], v26 offset:10240
	.loc	1 38 26                         ; indirect_matmul.py:38:26
	s_waitcnt lgkmcnt(7)
	v_mfma_f32_32x32x16_bf16 v[2:17], v[68:71], v[60:63], v[2:17]
	v_perm_b32 v60, v34, v30, s17
	v_perm_b32 v62, v34, v30, s18
	;; [unrolled: 1-line block ×6, first 2 shown]
	.loc	1 35 20                         ; indirect_matmul.py:35:20
	ds_read_b64_tr_b16 v[34:35], v27 offset:10752
	ds_read_b64_tr_b16 v[46:47], v27 offset:12800
	;; [unrolled: 1-line block ×3, first 2 shown]
	.loc	1 38 26                         ; indirect_matmul.py:38:26
	s_waitcnt lgkmcnt(9)
	v_mfma_f32_32x32x16_bf16 v[2:17], v[72:75], v[60:63], v[2:17]
	s_waitcnt lgkmcnt(8)
	v_mfma_f32_32x32x16_bf16 v[2:17], v[76:79], v[28:31], v[2:17]
	v_perm_b32 v28, v40, v36, s17
	v_perm_b32 v29, v56, v52, s17
	v_perm_b32 v30, v40, v36, s18
	v_perm_b32 v31, v56, v52, s18
	s_waitcnt lgkmcnt(4)
	s_nop 0
	v_mfma_f32_32x32x16_bf16 v[2:17], v[64:67], v[28:31], v[2:17]
	v_perm_b32 v28, v41, v37, s17
	v_perm_b32 v29, v57, v53, s17
	v_perm_b32 v30, v41, v37, s18
	v_perm_b32 v31, v57, v53, s18
	s_waitcnt lgkmcnt(2)
	s_nop 0
	;; [unrolled: 7-line block ×4, first 2 shown]
	v_mfma_f32_32x32x16_bf16 v[2:17], v[48:51], v[28:31], v[2:17]
	.loc	1 32 25                         ; indirect_matmul.py:32:25
	s_cbranch_scc1 .LBB0_2
	s_branch .LBB0_4
.LBB0_3:
	.loc	1 0 25 is_stmt 0                ; indirect_matmul.py:0:25
	v_mov_b32_e32 v17, 0
	v_mov_b32_e32 v16, v17
	v_mov_b32_e32 v15, v17
	v_mov_b32_e32 v14, v17
	v_mov_b32_e32 v13, v17
	v_mov_b32_e32 v12, v17
	v_mov_b32_e32 v11, v17
	v_mov_b32_e32 v10, v17
	v_mov_b32_e32 v9, v17
	v_mov_b32_e32 v8, v17
	v_mov_b32_e32 v7, v17
	v_mov_b32_e32 v6, v17
	v_mov_b32_e32 v5, v17
	v_mov_b32_e32 v4, v17
	v_mov_b32_e32 v3, v17
	v_mov_b32_e32 v2, v17
.LBB0_4:                                ; %._crit_edge
	.loc	1 26 35 is_stmt 1               ; indirect_matmul.py:26:35
	v_lshrrev_b32_e32 v1, 3, v0
	s_lshr_b32 s0, s9, 1
	v_and_or_b32 v18, v1, 4, s0
	.loc	1 42 28                         ; indirect_matmul.py:42:28
	s_lshr_b32 s0, s5, 2
	v_and_or_b32 v0, v0, 31, s0
	.loc	1 26 35                         ; indirect_matmul.py:26:35
	v_or_b32_e32 v19, 27, v18
	v_or_b32_e32 v21, 26, v18
	;; [unrolled: 1-line block ×15, first 2 shown]
	.loc	1 42 21                         ; indirect_matmul.py:42:21
	v_lshlrev_b32_e32 v0, 2, v0
	v_mov_b32_e32 v1, 0
	.loc	1 42 48 is_stmt 0               ; indirect_matmul.py:42:48
	v_mul_lo_u32 v18, v18, s4
	.loc	1 42 21                         ; indirect_matmul.py:42:21
	v_lshl_add_u64 v[0:1], s[2:3], 0, v[0:1]
	.loc	1 42 48                         ; indirect_matmul.py:42:48
	v_mul_lo_u32 v20, v20, s4
	v_mul_lo_u32 v22, v22, s4
	;; [unrolled: 1-line block ×15, first 2 shown]
	.loc	1 42 39                         ; indirect_matmul.py:42:39
	v_ashrrev_i32_e32 v19, 31, v18
	v_lshl_add_u64 v[18:19], v[18:19], 2, v[0:1]
	v_ashrrev_i32_e32 v21, 31, v20
	v_ashrrev_i32_e32 v23, 31, v22
	;; [unrolled: 1-line block ×15, first 2 shown]
	v_lshl_add_u64 v[20:21], v[20:21], 2, v[0:1]
	v_lshl_add_u64 v[22:23], v[22:23], 2, v[0:1]
	;; [unrolled: 1-line block ×15, first 2 shown]
	.loc	1 43 23 is_stmt 1               ; indirect_matmul.py:43:23
	global_store_dword v[18:19], v2, off
	global_store_dword v[20:21], v3, off
	;; [unrolled: 1-line block ×16, first 2 shown]
	.loc	1 43 4 is_stmt 0                ; indirect_matmul.py:43:4
	s_endpgm
.Ltmp2:
	.section	.rodata,"a",@progbits
	.p2align	6, 0x0
	.amdhsa_kernel indirect_matmul_kernel
		.amdhsa_group_segment_fixed_size 0
		.amdhsa_private_segment_fixed_size 0
		.amdhsa_kernarg_size 80
		.amdhsa_user_sgpr_count 16
		.amdhsa_user_sgpr_dispatch_ptr 0
		.amdhsa_user_sgpr_queue_ptr 0
		.amdhsa_user_sgpr_kernarg_segment_ptr 1
		.amdhsa_user_sgpr_dispatch_id 0
		.amdhsa_user_sgpr_kernarg_preload_length 14
		.amdhsa_user_sgpr_kernarg_preload_offset 0
		.amdhsa_user_sgpr_private_segment_size 0
		.amdhsa_uses_dynamic_stack 0
		.amdhsa_enable_private_segment 0
		.amdhsa_system_sgpr_workgroup_id_x 1
		.amdhsa_system_sgpr_workgroup_id_y 0
		.amdhsa_system_sgpr_workgroup_id_z 0
		.amdhsa_system_sgpr_workgroup_info 0
		.amdhsa_system_vgpr_workitem_id 0
		.amdhsa_next_free_vgpr 92
		.amdhsa_next_free_sgpr 19
		.amdhsa_accum_offset 92
		.amdhsa_reserve_vcc 0
		.amdhsa_reserve_xnack_mask 1
		.amdhsa_float_round_mode_32 0
		.amdhsa_float_round_mode_16_64 0
		.amdhsa_float_denorm_mode_32 3
		.amdhsa_float_denorm_mode_16_64 3
		.amdhsa_dx10_clamp 1
		.amdhsa_ieee_mode 1
		.amdhsa_fp16_overflow 0
		.amdhsa_tg_split 0
		.amdhsa_exception_fp_ieee_invalid_op 0
		.amdhsa_exception_fp_denorm_src 0
		.amdhsa_exception_fp_ieee_div_zero 0
		.amdhsa_exception_fp_ieee_overflow 0
		.amdhsa_exception_fp_ieee_underflow 0
		.amdhsa_exception_fp_ieee_inexact 0
		.amdhsa_exception_int_div_zero 0
	.end_amdhsa_kernel
	.text
.Lfunc_end0:
	.size	indirect_matmul_kernel, .Lfunc_end0-indirect_matmul_kernel
	.cfi_endproc
                                        ; -- End function
	.set indirect_matmul_kernel.num_vgpr, 92
	.set indirect_matmul_kernel.num_agpr, 0
	.set indirect_matmul_kernel.numbered_sgpr, 19
	.set indirect_matmul_kernel.num_named_barrier, 0
	.set indirect_matmul_kernel.private_seg_size, 0
	.set indirect_matmul_kernel.uses_vcc, 0
	.set indirect_matmul_kernel.uses_flat_scratch, 0
	.set indirect_matmul_kernel.has_dyn_sized_stack, 0
	.set indirect_matmul_kernel.has_recursion, 0
	.set indirect_matmul_kernel.has_indirect_call, 0
	.section	.AMDGPU.csdata,"",@progbits
; Kernel info:
; codeLenInByte = 4036
; TotalNumSgprs: 25
; NumVgprs: 92
; NumAgprs: 0
; TotalNumVgprs: 92
; ScratchSize: 0
; MemoryBound: 0
; FloatMode: 240
; IeeeMode: 1
; LDSByteSize: 0 bytes/workgroup (compile time only)
; SGPRBlocks: 3
; VGPRBlocks: 11
; NumSGPRsForWavesPerEU: 25
; NumVGPRsForWavesPerEU: 92
; AccumOffset: 92
; Occupancy: 5
; WaveLimiterHint : 1
; COMPUTE_PGM_RSRC2:SCRATCH_EN: 0
; COMPUTE_PGM_RSRC2:USER_SGPR: 16
; COMPUTE_PGM_RSRC2:TRAP_HANDLER: 0
; COMPUTE_PGM_RSRC2:TGID_X_EN: 1
; COMPUTE_PGM_RSRC2:TGID_Y_EN: 0
; COMPUTE_PGM_RSRC2:TGID_Z_EN: 0
; COMPUTE_PGM_RSRC2:TIDIG_COMP_CNT: 0
; COMPUTE_PGM_RSRC3_GFX90A:ACCUM_OFFSET: 22
; COMPUTE_PGM_RSRC3_GFX90A:TG_SPLIT: 0
	.text
	.p2alignl 6, 3212836864
	.fill 256, 4, 3212836864
	.section	.AMDGPU.gpr_maximums,"",@progbits
	.set amdgpu.max_num_vgpr, 0
	.set amdgpu.max_num_agpr, 0
	.set amdgpu.max_num_sgpr, 0
	.set amdgpu.max_num_named_barrier, 0
	.text
	.section	.debug_abbrev,"",@progbits
	.byte	1                               ; Abbreviation Code
	.byte	17                              ; DW_TAG_compile_unit
	.byte	0                               ; DW_CHILDREN_no
	.byte	37                              ; DW_AT_producer
	.byte	14                              ; DW_FORM_strp
	.byte	19                              ; DW_AT_language
	.byte	5                               ; DW_FORM_data2
	.byte	3                               ; DW_AT_name
	.byte	14                              ; DW_FORM_strp
	.byte	16                              ; DW_AT_stmt_list
	.byte	23                              ; DW_FORM_sec_offset
	.byte	27                              ; DW_AT_comp_dir
	.byte	14                              ; DW_FORM_strp
	.byte	17                              ; DW_AT_low_pc
	.byte	1                               ; DW_FORM_addr
	.byte	18                              ; DW_AT_high_pc
	.byte	6                               ; DW_FORM_data4
	.byte	0                               ; EOM(1)
	.byte	0                               ; EOM(2)
	;; [unrolled: 1-line block ×3, first 2 shown]
	.section	.debug_info,"",@progbits
.Lcu_begin0:
	.long	.Ldebug_info_end0-.Ldebug_info_start0 ; Length of Unit
.Ldebug_info_start0:
	.short	4                               ; DWARF version number
	.long	.debug_abbrev                   ; Offset Into Abbrev. Section
	.byte	8                               ; Address Size (in bytes)
	.byte	1                               ; Abbrev [1] 0xb:0x1f DW_TAG_compile_unit
	.long	.Linfo_string0                  ; DW_AT_producer
	.short	2                               ; DW_AT_language
	.long	.Linfo_string1                  ; DW_AT_name
	.long	.Lline_table_start0             ; DW_AT_stmt_list
	.long	.Linfo_string2                  ; DW_AT_comp_dir
	.quad	.Lfunc_begin0                   ; DW_AT_low_pc
	.long	.Lfunc_end0-.Lfunc_begin0       ; DW_AT_high_pc
.Ldebug_info_end0:
	.section	.debug_str,"MS",@progbits,1
.Linfo_string0:
	.asciz	"triton"                        ; string offset=0
.Linfo_string1:
	.asciz	"indirect_matmul.py"            ; string offset=7
.Linfo_string2:
	.asciz	"/root/src/amdgpu-assembly/repos/triton-lang__triton-aot" ; string offset=26
	.section	".note.GNU-stack","",@progbits
	.amdgpu_metadata
---
amdhsa.kernels:
  - .agpr_count:     0
    .args:
      - .address_space:  global
        .offset:         0
        .size:           8
        .value_kind:     global_buffer
      - .offset:         8
        .size:           4
        .value_kind:     by_value
      - .address_space:  global
        .offset:         16
        .size:           8
        .value_kind:     global_buffer
      - .offset:         24
        .size:           4
        .value_kind:     by_value
      - .address_space:  global
        .offset:         32
        .size:           8
        .value_kind:     global_buffer
      - .offset:         40
        .size:           4
        .value_kind:     by_value
      - .address_space:  global
        .offset:         48
        .size:           8
        .value_kind:     global_buffer
      - .offset:         56
        .size:           4
        .value_kind:     by_value
      - .address_space:  global
        .offset:         64
        .size:           8
        .value_kind:     global_buffer
      - .address_space:  global
        .offset:         72
        .size:           8
        .value_kind:     global_buffer
    .group_segment_fixed_size: 0
    .kernarg_segment_align: 8
    .kernarg_segment_size: 80
    .max_flat_workgroup_size: 512
    .name:           indirect_matmul_kernel
    .private_segment_fixed_size: 0
    .sgpr_count:     25
    .sgpr_spill_count: 0
    .symbol:         indirect_matmul_kernel.kd
    .uniform_work_group_size: 1
    .uses_dynamic_stack: false
    .vgpr_count:     92
    .vgpr_spill_count: 0
    .wavefront_size: 64
amdhsa.target:   amdgcn-amd-amdhsa--gfx950
amdhsa.version:
  - 1
  - 2
...

	.end_amdgpu_metadata
	.section	.debug_line,"",@progbits
.Lline_table_start0:
